;; amdgpu-corpus repo=FlagOpen/FlagGems kind=triton arch=gfx950 opt=O3 lang=triton
	.amdgcn_target "amdgcn-amd-amdhsa--gfx950"
	.amdhsa_code_object_version 5
	.text
	.globl	fused_add_rms_norm_kernel       ; -- Begin function fused_add_rms_norm_kernel
	.p2align	8
	.type	fused_add_rms_norm_kernel,@function
fused_add_rms_norm_kernel:              ; @fused_add_rms_norm_kernel
.Lfunc_begin0:
	.cfi_sections .debug_frame
	.cfi_startproc
; %bb.39:
	.file	1 "/root/src/amdgpu-assembly/repos/FlagOpen__FlagGems/triton_aot_kernels" "fused_add_rms_norm_aot.py"
	.loc	1 8 0 prologue_end              ; fused_add_rms_norm_aot.py:8:0
	s_load_dwordx2 s[2:3], s[0:1], 0x0
	s_load_dwordx8 s[4:11], s[0:1], 0x8
	s_load_dwordx4 s[12:15], s[0:1], 0x28
	s_waitcnt lgkmcnt(0)
	s_branch .LBB0_0
	.loc	1 0 0 is_stmt 0                 ; :0:0
.Ltmp0:
	.p2align	8
; %bb.40:
.LBB0_0:
.Ltmp1:
	.loc	1 28 23 is_stmt 1               ; fused_add_rms_norm_aot.py:28:23
	s_mul_i32 s0, s8, s16
	.loc	1 28 17 is_stmt 0               ; fused_add_rms_norm_aot.py:28:17
	s_ashr_i32 s1, s0, 31
	s_lshl_b64 s[0:1], s[0:1], 1
.Ltmp2:
	.file	2 "/root/.local/lib/python3.13/site-packages/triton/language" "standard.py"
	.loc	2 293 36 is_stmt 1              ; standard.py:293:36 @[ fused_add_rms_norm_aot.py:40:17 ]
	v_readfirstlane_b32 s17, v0
.Ltmp3:
	.loc	1 28 17                         ; fused_add_rms_norm_aot.py:28:17
	s_add_u32 s18, s2, s0
	s_addc_u32 s19, s3, s1
	.loc	1 31 24                         ; fused_add_rms_norm_aot.py:31:24
	v_and_b32_e32 v23, 63, v0
	s_and_b32 s0, s17, 0x1c0
	v_or_b32_e32 v1, s0, v23
	.loc	1 33 35                         ; fused_add_rms_norm_aot.py:33:35
	v_mul_lo_u32 v8, v1, s9
	.loc	1 33 28 is_stmt 0               ; fused_add_rms_norm_aot.py:33:28
	v_ashrrev_i32_e32 v9, 31, v8
	.loc	1 33 48                         ; fused_add_rms_norm_aot.py:33:48
	v_mov_b32_e32 v25, 0
	s_mov_b64 s[20:21], s[6:7]
	.loc	1 31 38 is_stmt 1               ; fused_add_rms_norm_aot.py:31:38
	v_cmp_gt_i32_e64 s[0:1], s12, v1
	.loc	1 33 28                         ; fused_add_rms_norm_aot.py:33:28
	v_lshl_add_u64 v[2:3], v[8:9], 1, s[18:19]
	v_mov_b32_e32 v24, v25
	.loc	1 33 48 is_stmt 0               ; fused_add_rms_norm_aot.py:33:48
	s_and_saveexec_b64 s[2:3], s[0:1]
	s_cbranch_execz .LBB0_2
; %bb.1:
	global_load_ushort v24, v[2:3], off
.LBB0_2:
	.loc	1 0 48                          ; fused_add_rms_norm_aot.py:0:48
	s_or_b64 exec, exec, s[2:3]
	.loc	1 33 35                         ; fused_add_rms_norm_aot.py:33:35
	v_lshl_add_u32 v4, s9, 9, v8
	.loc	1 31 24 is_stmt 1               ; fused_add_rms_norm_aot.py:31:24
	v_or_b32_e32 v20, 0x200, v1
	.loc	1 33 28                         ; fused_add_rms_norm_aot.py:33:28
	v_ashrrev_i32_e32 v5, 31, v4
	.loc	1 31 38                         ; fused_add_rms_norm_aot.py:31:38
	v_cmp_gt_i32_e64 s[2:3], s12, v20
	.loc	1 33 28                         ; fused_add_rms_norm_aot.py:33:28
	v_lshl_add_u64 v[4:5], v[4:5], 1, s[18:19]
	.loc	1 33 48 is_stmt 0               ; fused_add_rms_norm_aot.py:33:48
	s_and_saveexec_b64 s[6:7], s[2:3]
	s_cbranch_execz .LBB0_4
; %bb.3:
	global_load_ushort v25, v[4:5], off
.LBB0_4:
	.loc	1 0 48                          ; fused_add_rms_norm_aot.py:0:48
	s_or_b64 exec, exec, s[6:7]
	.loc	1 33 35                         ; fused_add_rms_norm_aot.py:33:35
	v_lshl_add_u32 v6, s9, 10, v8
	.loc	1 31 24 is_stmt 1               ; fused_add_rms_norm_aot.py:31:24
	v_or_b32_e32 v21, 0x400, v1
	.loc	1 33 28                         ; fused_add_rms_norm_aot.py:33:28
	v_ashrrev_i32_e32 v7, 31, v6
	.loc	1 33 48 is_stmt 0               ; fused_add_rms_norm_aot.py:33:48
	v_mov_b32_e32 v27, 0
	.loc	1 31 38 is_stmt 1               ; fused_add_rms_norm_aot.py:31:38
	v_cmp_gt_i32_e64 s[14:15], s12, v21
	.loc	1 33 28                         ; fused_add_rms_norm_aot.py:33:28
	v_lshl_add_u64 v[6:7], v[6:7], 1, s[18:19]
	v_mov_b32_e32 v26, v27
	.loc	1 33 48 is_stmt 0               ; fused_add_rms_norm_aot.py:33:48
	s_and_saveexec_b64 s[6:7], s[14:15]
	s_cbranch_execz .LBB0_6
; %bb.5:
	global_load_ushort v26, v[6:7], off
.LBB0_6:
	.loc	1 0 48                          ; fused_add_rms_norm_aot.py:0:48
	s_or_b64 exec, exec, s[6:7]
	.loc	1 33 35                         ; fused_add_rms_norm_aot.py:33:35
	s_mulk_i32 s9, 0x600
	v_add_u32_e32 v8, s9, v8
	.loc	1 31 24 is_stmt 1               ; fused_add_rms_norm_aot.py:31:24
	v_or_b32_e32 v22, 0x600, v1
	.loc	1 33 28                         ; fused_add_rms_norm_aot.py:33:28
	v_ashrrev_i32_e32 v9, 31, v8
	.loc	1 31 38                         ; fused_add_rms_norm_aot.py:31:38
	v_cmp_gt_i32_e64 s[6:7], s12, v22
	.loc	1 33 28                         ; fused_add_rms_norm_aot.py:33:28
	v_lshl_add_u64 v[8:9], v[8:9], 1, s[18:19]
	.loc	1 33 48 is_stmt 0               ; fused_add_rms_norm_aot.py:33:48
	s_and_saveexec_b64 s[8:9], s[6:7]
	s_cbranch_execz .LBB0_8
; %bb.7:
	global_load_ushort v27, v[8:9], off
.LBB0_8:
	.loc	1 0 48                          ; fused_add_rms_norm_aot.py:0:48
	s_or_b64 exec, exec, s[8:9]
	.loc	1 29 26 is_stmt 1               ; fused_add_rms_norm_aot.py:29:26
	s_mul_i32 s8, s10, s16
	.loc	1 29 20 is_stmt 0               ; fused_add_rms_norm_aot.py:29:20
	s_ashr_i32 s9, s8, 31
	s_lshl_b64 s[8:9], s[8:9], 1
	s_add_u32 s4, s4, s8
	.loc	1 34 38 is_stmt 1               ; fused_add_rms_norm_aot.py:34:38
	v_mul_lo_u32 v10, v1, s11
	.loc	1 29 20                         ; fused_add_rms_norm_aot.py:29:20
	s_addc_u32 s5, s5, s9
	.loc	1 34 31                         ; fused_add_rms_norm_aot.py:34:31
	v_ashrrev_i32_e32 v11, 31, v10
	.loc	1 34 50 is_stmt 0               ; fused_add_rms_norm_aot.py:34:50
	v_mov_b32_e32 v28, 0
	.loc	1 34 31                         ; fused_add_rms_norm_aot.py:34:31
	v_lshl_add_u64 v[12:13], v[10:11], 1, s[4:5]
	v_mov_b32_e32 v11, v28
	.loc	1 34 50                         ; fused_add_rms_norm_aot.py:34:50
	s_and_saveexec_b64 s[8:9], s[0:1]
	s_cbranch_execz .LBB0_10
; %bb.9:
	global_load_ushort v11, v[12:13], off
.LBB0_10:
	.loc	1 0 50                          ; fused_add_rms_norm_aot.py:0:50
	s_or_b64 exec, exec, s[8:9]
	.loc	1 34 38                         ; fused_add_rms_norm_aot.py:34:38
	v_lshl_add_u32 v14, s11, 9, v10
	.loc	1 34 31                         ; fused_add_rms_norm_aot.py:34:31
	v_ashrrev_i32_e32 v15, 31, v14
	v_lshl_add_u64 v[16:17], v[14:15], 1, s[4:5]
	.loc	1 34 50                         ; fused_add_rms_norm_aot.py:34:50
	s_and_saveexec_b64 s[8:9], s[2:3]
	s_cbranch_execz .LBB0_12
; %bb.11:
	global_load_ushort v28, v[16:17], off
.LBB0_12:
	.loc	1 0 50                          ; fused_add_rms_norm_aot.py:0:50
	s_or_b64 exec, exec, s[8:9]
	.loc	1 34 38                         ; fused_add_rms_norm_aot.py:34:38
	v_lshl_add_u32 v14, s11, 10, v10
	.loc	1 34 31                         ; fused_add_rms_norm_aot.py:34:31
	v_ashrrev_i32_e32 v15, 31, v14
	.loc	1 34 50                         ; fused_add_rms_norm_aot.py:34:50
	v_mov_b32_e32 v30, 0
	.loc	1 34 31                         ; fused_add_rms_norm_aot.py:34:31
	v_lshl_add_u64 v[14:15], v[14:15], 1, s[4:5]
	v_mov_b32_e32 v29, v30
	.loc	1 34 50                         ; fused_add_rms_norm_aot.py:34:50
	s_and_saveexec_b64 s[8:9], s[14:15]
	s_cbranch_execz .LBB0_14
; %bb.13:
	global_load_ushort v29, v[14:15], off
.LBB0_14:
	.loc	1 0 50                          ; fused_add_rms_norm_aot.py:0:50
	s_or_b64 exec, exec, s[8:9]
	.loc	1 34 38                         ; fused_add_rms_norm_aot.py:34:38
	s_mulk_i32 s11, 0x600
	v_add_u32_e32 v18, s11, v10
	.loc	1 34 31                         ; fused_add_rms_norm_aot.py:34:31
	v_ashrrev_i32_e32 v19, 31, v18
	v_lshl_add_u64 v[18:19], v[18:19], 1, s[4:5]
	.loc	1 34 50                         ; fused_add_rms_norm_aot.py:34:50
	s_and_saveexec_b64 s[4:5], s[6:7]
	s_cbranch_execz .LBB0_16
; %bb.15:
	global_load_ushort v30, v[18:19], off
.LBB0_16:
	.loc	1 0 50                          ; fused_add_rms_norm_aot.py:0:50
	s_or_b64 exec, exec, s[4:5]
	.loc	1 33 68 is_stmt 1               ; fused_add_rms_norm_aot.py:33:68
	s_waitcnt vmcnt(0)
	v_cvt_f32_f16_e32 v25, v25
	v_cvt_f32_f16_e32 v24, v24
	.loc	1 34 70                         ; fused_add_rms_norm_aot.py:34:70
	v_cvt_f32_f16_e32 v33, v28
	v_cvt_f32_f16_e32 v32, v11
	.loc	1 36 9                          ; fused_add_rms_norm_aot.py:36:9
	v_pk_add_f32 v[10:11], v[24:25], v[32:33]
	.loc	1 38 47                         ; fused_add_rms_norm_aot.py:38:47
	s_and_saveexec_b64 s[4:5], s[0:1]
	s_cbranch_execz .LBB0_18
; %bb.17:
	.loc	1 0 47 is_stmt 0                ; fused_add_rms_norm_aot.py:0:47
	v_cvt_f16_f32_e32 v24, v10
	.loc	1 38 47                         ; fused_add_rms_norm_aot.py:38:47
	global_store_short v[12:13], v24, off
.LBB0_18:
	.loc	1 0 47                          ; fused_add_rms_norm_aot.py:0:47
	s_or_b64 exec, exec, s[4:5]
	.loc	1 38 47                         ; fused_add_rms_norm_aot.py:38:47
	s_and_saveexec_b64 s[4:5], s[2:3]
	s_cbranch_execz .LBB0_20
; %bb.19:
	.loc	1 0 47                          ; fused_add_rms_norm_aot.py:0:47
	v_cvt_f16_f32_e32 v12, v11
	.loc	1 38 47                         ; fused_add_rms_norm_aot.py:38:47
	global_store_short v[16:17], v12, off
.LBB0_20:
	.loc	1 0 47                          ; fused_add_rms_norm_aot.py:0:47
	s_or_b64 exec, exec, s[4:5]
	.loc	1 33 68 is_stmt 1               ; fused_add_rms_norm_aot.py:33:68
	v_cvt_f32_f16_e32 v13, v27
	v_cvt_f32_f16_e32 v12, v26
	.loc	1 34 70                         ; fused_add_rms_norm_aot.py:34:70
	v_cvt_f32_f16_e32 v17, v30
	v_cvt_f32_f16_e32 v16, v29
	.loc	1 36 9                          ; fused_add_rms_norm_aot.py:36:9
	v_pk_add_f32 v[12:13], v[12:13], v[16:17]
	.loc	1 38 47                         ; fused_add_rms_norm_aot.py:38:47
	s_and_saveexec_b64 s[4:5], s[14:15]
	s_cbranch_execz .LBB0_22
; %bb.21:
	.loc	1 0 47 is_stmt 0                ; fused_add_rms_norm_aot.py:0:47
	v_cvt_f16_f32_e32 v16, v12
	.loc	1 38 47                         ; fused_add_rms_norm_aot.py:38:47
	global_store_short v[14:15], v16, off
.LBB0_22:
	.loc	1 0 47                          ; fused_add_rms_norm_aot.py:0:47
	s_or_b64 exec, exec, s[4:5]
	.loc	1 38 47                         ; fused_add_rms_norm_aot.py:38:47
	s_and_saveexec_b64 s[4:5], s[6:7]
	s_cbranch_execz .LBB0_24
; %bb.23:
	.loc	1 0 47                          ; fused_add_rms_norm_aot.py:0:47
	v_cvt_f16_f32_e32 v14, v13
	.loc	1 38 47                         ; fused_add_rms_norm_aot.py:38:47
	global_store_short v[18:19], v14, off
.LBB0_24:
	.loc	1 0 47                          ; fused_add_rms_norm_aot.py:0:47
	s_or_b64 exec, exec, s[4:5]
	.loc	1 40 25 is_stmt 1               ; fused_add_rms_norm_aot.py:40:25
	v_cvt_f32_i32_e32 v18, s12
	.loc	1 40 21 is_stmt 0               ; fused_add_rms_norm_aot.py:40:21
	v_pk_mul_f32 v[14:15], v[10:11], v[10:11]
	v_pk_mul_f32 v[16:17], v[12:13], v[12:13]
	.loc	1 40 25                         ; fused_add_rms_norm_aot.py:40:25
	v_div_scale_f32 v19, s[4:5], v18, v18, v14
	v_rcp_f32_e32 v24, v19
	v_div_scale_f32 v25, vcc, v14, v18, v14
	v_fma_f32 v26, -v19, v24, 1.0
	v_fmac_f32_e32 v24, v26, v24
	v_mul_f32_e32 v26, v25, v24
	v_fma_f32 v27, -v19, v26, v25
	v_fmac_f32_e32 v26, v27, v24
	v_fma_f32 v19, -v19, v26, v25
	v_div_scale_f32 v25, s[4:5], v18, v18, v15
	v_rcp_f32_e32 v27, v25
	v_div_fmas_f32 v19, v19, v24, v26
	v_div_fixup_f32 v14, v19, v18, v14
	v_fma_f32 v19, -v25, v27, 1.0
	v_fmac_f32_e32 v27, v19, v27
	v_div_scale_f32 v19, vcc, v15, v18, v15
	v_mul_f32_e32 v24, v19, v27
	v_fma_f32 v26, -v25, v24, v19
	v_fmac_f32_e32 v24, v26, v27
	v_fma_f32 v19, -v25, v24, v19
	v_div_scale_f32 v25, s[4:5], v18, v18, v16
	v_rcp_f32_e32 v26, v25
	v_div_fmas_f32 v19, v19, v27, v24
	v_div_fixup_f32 v15, v19, v18, v15
.Ltmp4:
	.loc	2 263 15 is_stmt 1              ; standard.py:263:15 @[ standard.py:293:36 @[ fused_add_rms_norm_aot.py:40:17 ] ]
	v_add_f32_e32 v14, v14, v15
.Ltmp5:
	.loc	1 40 25                         ; fused_add_rms_norm_aot.py:40:25
	v_fma_f32 v19, -v25, v26, 1.0
	v_fmac_f32_e32 v26, v19, v26
	v_div_scale_f32 v19, vcc, v16, v18, v16
	v_mul_f32_e32 v24, v19, v26
	v_fma_f32 v27, -v25, v24, v19
	v_fmac_f32_e32 v24, v27, v26
	v_fma_f32 v19, -v25, v24, v19
	v_div_scale_f32 v25, s[4:5], v18, v18, v17
	v_rcp_f32_e32 v27, v25
	v_div_fmas_f32 v19, v19, v26, v24
	v_div_fixup_f32 v16, v19, v18, v16
.Ltmp6:
	.loc	2 263 15                        ; standard.py:263:15 @[ standard.py:293:36 @[ fused_add_rms_norm_aot.py:40:17 ] ]
	v_add_f32_e32 v14, v14, v16
.Ltmp7:
	.loc	1 40 25                         ; fused_add_rms_norm_aot.py:40:25
	v_fma_f32 v19, -v25, v27, 1.0
	v_fmac_f32_e32 v27, v19, v27
	v_div_scale_f32 v19, vcc, v17, v18, v17
	v_mul_f32_e32 v24, v19, v27
	v_fma_f32 v26, -v25, v24, v19
	v_fmac_f32_e32 v24, v26, v27
	v_fma_f32 v19, -v25, v24, v19
	v_div_fmas_f32 v19, v19, v27, v24
	v_div_fixup_f32 v17, v19, v18, v17
.Ltmp8:
	.loc	2 263 15                        ; standard.py:263:15 @[ standard.py:293:36 @[ fused_add_rms_norm_aot.py:40:17 ] ]
	v_add_f32_e32 v14, v14, v17
.Ltmp9:
	.loc	2 293 36                        ; standard.py:293:36 @[ fused_add_rms_norm_aot.py:40:17 ]
	v_cmp_eq_u32_e32 vcc, 0, v23
.Ltmp10:
	.loc	2 263 15                        ; standard.py:263:15 @[ standard.py:293:36 @[ fused_add_rms_norm_aot.py:40:17 ] ]
	s_nop 0
	v_add_f32_dpp v14, v14, v14 row_shr:8 row_mask:0xf bank_mask:0xf bound_ctrl:1
	s_nop 1
	v_add_f32_dpp v14, v14, v14 row_shr:4 row_mask:0xf bank_mask:0xf bound_ctrl:1
	;; [unrolled: 2-line block ×4, first 2 shown]
.Ltmp11:
	.loc	2 293 36                        ; standard.py:293:36 @[ fused_add_rms_norm_aot.py:40:17 ]
	v_mov_b32_e32 v15, v14
	s_nop 1
	v_mov_b32_dpp v15, v15 row_bcast:15 row_mask:0xa bank_mask:0xf bound_ctrl:1
.Ltmp12:
	.loc	2 263 15                        ; standard.py:263:15 @[ standard.py:293:36 @[ fused_add_rms_norm_aot.py:40:17 ] ]
	v_add_f32_e32 v14, v14, v15
	s_nop 1
	v_add_f32_dpp v14, v14, v14 row_bcast:31 row_mask:0xf bank_mask:0xf bound_ctrl:1
.Ltmp13:
	.loc	2 293 36                        ; standard.py:293:36 @[ fused_add_rms_norm_aot.py:40:17 ]
	s_nop 0
	v_readlane_b32 s8, v14, 63
	s_and_saveexec_b64 s[4:5], vcc
	s_cbranch_execz .LBB0_26
; %bb.25:
	.loc	2 0 36 is_stmt 0                ; standard.py:0:36
	s_lshr_b32 s9, s17, 4
	s_and_b32 s9, s9, 28
	s_add_i32 s9, s9, 0
	.loc	2 293 36                        ; standard.py:293:36 @[ fused_add_rms_norm_aot.py:40:17 ]
	v_mov_b32_e32 v14, s9
	v_mov_b32_e32 v15, s8
	ds_write_b32 v14, v15
.LBB0_26:
	.loc	2 0 36                          ; standard.py:0:36
	s_or_b64 exec, exec, s[4:5]
	.loc	2 293 36                        ; standard.py:293:36 @[ fused_add_rms_norm_aot.py:40:17 ]
	v_cmp_gt_u32_e32 vcc, 8, v0
	v_lshl_add_u32 v14, v0, 2, 0
.Ltmp14:
	.loc	1 40 17 is_stmt 1               ; fused_add_rms_norm_aot.py:40:17
	v_mov_b32_e32 v15, 0
.Ltmp15:
	.loc	2 293 36                        ; standard.py:293:36 @[ fused_add_rms_norm_aot.py:40:17 ]
	s_waitcnt lgkmcnt(0)
	s_barrier
	s_and_saveexec_b64 s[4:5], vcc
; %bb.27:
	ds_read_b32 v15, v14
; %bb.28:
	.loc	2 0 36 is_stmt 0                ; standard.py:0:36
	s_or_b64 exec, exec, s[4:5]
	.loc	2 293 36                        ; standard.py:293:36 @[ fused_add_rms_norm_aot.py:40:17 ]
	s_waitcnt lgkmcnt(0)
	v_mov_b32_e32 v16, v15
	v_and_b32_e32 v0, 7, v0
	v_cmp_eq_u32_e64 s[4:5], 0, v0
	v_mov_b32_dpp v16, v16 row_shr:4 row_mask:0xf bank_mask:0xa
	s_and_b64 s[8:9], vcc, s[4:5]
	s_nop 0
	v_mov_b32_dpp v16, v15 row_shl:4 row_mask:0xf bank_mask:0x5
.Ltmp16:
	.loc	2 263 15 is_stmt 1              ; standard.py:263:15 @[ standard.py:293:36 @[ fused_add_rms_norm_aot.py:40:17 ] ]
	v_add_f32_e32 v15, v15, v16
.Ltmp17:
	.loc	2 293 36                        ; standard.py:293:36 @[ fused_add_rms_norm_aot.py:40:17 ]
	v_mov_b32_e32 v16, v15
	s_nop 1
	v_mov_b32_dpp v16, v16 quad_perm:[2,3,0,1] row_mask:0xf bank_mask:0xf
.Ltmp18:
	.loc	2 263 15                        ; standard.py:263:15 @[ standard.py:293:36 @[ fused_add_rms_norm_aot.py:40:17 ] ]
	v_add_f32_e32 v15, v15, v16
.Ltmp19:
	.loc	2 293 36                        ; standard.py:293:36 @[ fused_add_rms_norm_aot.py:40:17 ]
	v_mov_b32_e32 v16, v15
	s_nop 1
	v_mov_b32_dpp v16, v16 quad_perm:[1,0,3,2] row_mask:0xf bank_mask:0xf
	s_and_saveexec_b64 s[4:5], s[8:9]
; %bb.29:
	.loc	2 0 36 is_stmt 0                ; standard.py:0:36
	v_add_f32_e32 v0, v15, v16
	.loc	2 293 36                        ; standard.py:293:36 @[ fused_add_rms_norm_aot.py:40:17 ]
	ds_write_b32 v14, v0
.Ltmp20:
; %bb.30:
	.loc	2 0 36                          ; standard.py:0:36
	s_or_b64 exec, exec, s[4:5]
	.loc	1 43 16 is_stmt 1               ; fused_add_rms_norm_aot.py:43:16
	v_lshlrev_b32_e32 v0, 1, v1
	v_bfrev_b32_e32 v1, 1
	v_lshlrev_b32_e32 v14, 1, v20
	s_and_b32 s21, s21, 0xffff
	s_mov_b32 s23, 0x27000
	s_mov_b32 s22, 0x7ffffffe
	v_cndmask_b32_e64 v14, v1, v14, s[2:3]
.Ltmp21:
	.loc	2 293 36                        ; standard.py:293:36 @[ fused_add_rms_norm_aot.py:40:17 ]
	s_waitcnt lgkmcnt(0)
	s_barrier
.Ltmp22:
	.loc	1 43 16                         ; fused_add_rms_norm_aot.py:43:16
	v_cndmask_b32_e64 v0, v1, v0, s[0:1]
	buffer_load_ushort v16, v14, s[20:23], 0 offen
	buffer_load_ushort v18, v0, s[20:23], 0 offen
	v_lshlrev_b32_e32 v0, 1, v21
	v_cndmask_b32_e64 v0, v1, v0, s[14:15]
	v_lshlrev_b32_e32 v14, 1, v22
	v_cndmask_b32_e64 v1, v1, v14, s[6:7]
	buffer_load_ushort v14, v0, s[20:23], 0 offen
	buffer_load_ushort v15, v1, s[20:23], 0 offen
.Ltmp23:
	.loc	2 293 36                        ; standard.py:293:36 @[ fused_add_rms_norm_aot.py:40:17 ]
	v_mov_b32_e32 v0, 0
	ds_read_b32 v0, v0
.Ltmp24:
	.loc	1 41 29                         ; fused_add_rms_norm_aot.py:41:29
	s_waitcnt lgkmcnt(0)
	v_add_f32_e32 v0, s13, v0
	.loc	1 41 23 is_stmt 0               ; fused_add_rms_norm_aot.py:41:23
	v_sqrt_f32_e32 v0, v0
	.loc	1 41 15                         ; fused_add_rms_norm_aot.py:41:15
	s_nop 0
	v_div_scale_f32 v1, s[4:5], v0, v0, 1.0
	v_rcp_f32_e32 v19, v1
	v_div_scale_f32 v17, vcc, 1.0, v0, 1.0
	v_fma_f32 v20, -v1, v19, 1.0
	v_fmac_f32_e32 v19, v20, v19
	v_mul_f32_e32 v20, v17, v19
	v_fma_f32 v21, -v1, v20, v17
	v_fmac_f32_e32 v20, v21, v19
	v_fma_f32 v1, -v1, v20, v17
	v_div_fmas_f32 v1, v1, v19, v20
	v_div_fixup_f32 v0, v1, v0, 1.0
	.loc	1 44 13 is_stmt 1               ; fused_add_rms_norm_aot.py:44:13
	v_pk_mul_f32 v[10:11], v[10:11], v[0:1] op_sel_hi:[1,0]
	.loc	1 44 20 is_stmt 0               ; fused_add_rms_norm_aot.py:44:20
	s_waitcnt vmcnt(3)
	v_cvt_f32_f16_e32 v17, v16
	s_waitcnt vmcnt(2)
	v_cvt_f32_f16_e32 v16, v18
	v_pk_mul_f32 v[10:11], v[10:11], v[16:17]
	.loc	1 46 45 is_stmt 1               ; fused_add_rms_norm_aot.py:46:45
	s_and_saveexec_b64 s[4:5], s[0:1]
	s_cbranch_execz .LBB0_32
; %bb.31:
	.loc	1 0 45 is_stmt 0                ; fused_add_rms_norm_aot.py:0:45
	v_cvt_f16_f32_e32 v1, v10
	.loc	1 46 45                         ; fused_add_rms_norm_aot.py:46:45
	global_store_short v[2:3], v1, off
.LBB0_32:
	.loc	1 0 45                          ; fused_add_rms_norm_aot.py:0:45
	s_or_b64 exec, exec, s[4:5]
	v_mov_b32_e32 v1, v0
	.loc	1 46 45                         ; fused_add_rms_norm_aot.py:46:45
	s_and_saveexec_b64 s[0:1], s[2:3]
	s_cbranch_execz .LBB0_34
; %bb.33:
	.loc	1 0 45                          ; fused_add_rms_norm_aot.py:0:45
	v_cvt_f16_f32_e32 v2, v11
	.loc	1 46 45                         ; fused_add_rms_norm_aot.py:46:45
	global_store_short v[4:5], v2, off
.LBB0_34:
	.loc	1 0 45                          ; fused_add_rms_norm_aot.py:0:45
	s_or_b64 exec, exec, s[0:1]
	.loc	1 44 20 is_stmt 1               ; fused_add_rms_norm_aot.py:44:20
	s_waitcnt vmcnt(0)
	v_cvt_f32_f16_e32 v3, v15
	v_cvt_f32_f16_e32 v2, v14
	.loc	1 44 13 is_stmt 0               ; fused_add_rms_norm_aot.py:44:13
	v_pk_mul_f32 v[0:1], v[12:13], v[0:1]
	.loc	1 44 20                         ; fused_add_rms_norm_aot.py:44:20
	s_nop 0
	v_pk_mul_f32 v[0:1], v[0:1], v[2:3]
	.loc	1 46 45 is_stmt 1               ; fused_add_rms_norm_aot.py:46:45
	s_and_saveexec_b64 s[0:1], s[14:15]
	s_cbranch_execnz .LBB0_37
; %bb.35:
	.loc	1 0 45 is_stmt 0                ; fused_add_rms_norm_aot.py:0:45
	s_or_b64 exec, exec, s[0:1]
	.loc	1 46 45                         ; fused_add_rms_norm_aot.py:46:45
	s_and_saveexec_b64 s[0:1], s[6:7]
	s_cbranch_execnz .LBB0_38
.LBB0_36:
	.loc	1 46 4                          ; fused_add_rms_norm_aot.py:46:4
	s_endpgm
.LBB0_37:
	.loc	1 0 4                           ; fused_add_rms_norm_aot.py:0:4
	v_cvt_f16_f32_e32 v0, v0
	.loc	1 46 45                         ; fused_add_rms_norm_aot.py:46:45
	global_store_short v[6:7], v0, off
	s_or_b64 exec, exec, s[0:1]
	s_and_saveexec_b64 s[0:1], s[6:7]
	s_cbranch_execz .LBB0_36
.LBB0_38:
	.loc	1 0 45                          ; fused_add_rms_norm_aot.py:0:45
	v_cvt_f16_f32_e32 v0, v1
	.loc	1 46 45                         ; fused_add_rms_norm_aot.py:46:45
	global_store_short v[8:9], v0, off
	.loc	1 46 4                          ; fused_add_rms_norm_aot.py:46:4
	s_endpgm
.Ltmp25:
	.section	.rodata,"a",@progbits
	.p2align	6, 0x0
	.amdhsa_kernel fused_add_rms_norm_kernel
		.amdhsa_group_segment_fixed_size 0
		.amdhsa_private_segment_fixed_size 0
		.amdhsa_kernarg_size 64
		.amdhsa_user_sgpr_count 16
		.amdhsa_user_sgpr_dispatch_ptr 0
		.amdhsa_user_sgpr_queue_ptr 0
		.amdhsa_user_sgpr_kernarg_segment_ptr 1
		.amdhsa_user_sgpr_dispatch_id 0
		.amdhsa_user_sgpr_kernarg_preload_length 14
		.amdhsa_user_sgpr_kernarg_preload_offset 0
		.amdhsa_user_sgpr_private_segment_size 0
		.amdhsa_uses_dynamic_stack 0
		.amdhsa_enable_private_segment 0
		.amdhsa_system_sgpr_workgroup_id_x 1
		.amdhsa_system_sgpr_workgroup_id_y 0
		.amdhsa_system_sgpr_workgroup_id_z 0
		.amdhsa_system_sgpr_workgroup_info 0
		.amdhsa_system_vgpr_workitem_id 0
		.amdhsa_next_free_vgpr 34
		.amdhsa_next_free_sgpr 24
		.amdhsa_accum_offset 36
		.amdhsa_reserve_vcc 1
		.amdhsa_reserve_xnack_mask 1
		.amdhsa_float_round_mode_32 0
		.amdhsa_float_round_mode_16_64 0
		.amdhsa_float_denorm_mode_32 3
		.amdhsa_float_denorm_mode_16_64 3
		.amdhsa_dx10_clamp 1
		.amdhsa_ieee_mode 1
		.amdhsa_fp16_overflow 0
		.amdhsa_tg_split 0
		.amdhsa_exception_fp_ieee_invalid_op 0
		.amdhsa_exception_fp_denorm_src 0
		.amdhsa_exception_fp_ieee_div_zero 0
		.amdhsa_exception_fp_ieee_overflow 0
		.amdhsa_exception_fp_ieee_underflow 0
		.amdhsa_exception_fp_ieee_inexact 0
		.amdhsa_exception_int_div_zero 0
	.end_amdhsa_kernel
	.text
.Lfunc_end0:
	.size	fused_add_rms_norm_kernel, .Lfunc_end0-fused_add_rms_norm_kernel
	.cfi_endproc
                                        ; -- End function
	.set fused_add_rms_norm_kernel.num_vgpr, 34
	.set fused_add_rms_norm_kernel.num_agpr, 0
	.set fused_add_rms_norm_kernel.numbered_sgpr, 24
	.set fused_add_rms_norm_kernel.num_named_barrier, 0
	.set fused_add_rms_norm_kernel.private_seg_size, 0
	.set fused_add_rms_norm_kernel.uses_vcc, 1
	.set fused_add_rms_norm_kernel.uses_flat_scratch, 0
	.set fused_add_rms_norm_kernel.has_dyn_sized_stack, 0
	.set fused_add_rms_norm_kernel.has_recursion, 0
	.set fused_add_rms_norm_kernel.has_indirect_call, 0
	.section	.AMDGPU.csdata,"",@progbits
; Kernel info:
; codeLenInByte = 1872
; TotalNumSgprs: 30
; NumVgprs: 34
; NumAgprs: 0
; TotalNumVgprs: 34
; ScratchSize: 0
; MemoryBound: 0
; FloatMode: 240
; IeeeMode: 1
; LDSByteSize: 0 bytes/workgroup (compile time only)
; SGPRBlocks: 3
; VGPRBlocks: 4
; NumSGPRsForWavesPerEU: 30
; NumVGPRsForWavesPerEU: 34
; AccumOffset: 36
; Occupancy: 8
; WaveLimiterHint : 0
; COMPUTE_PGM_RSRC2:SCRATCH_EN: 0
; COMPUTE_PGM_RSRC2:USER_SGPR: 16
; COMPUTE_PGM_RSRC2:TRAP_HANDLER: 0
; COMPUTE_PGM_RSRC2:TGID_X_EN: 1
; COMPUTE_PGM_RSRC2:TGID_Y_EN: 0
; COMPUTE_PGM_RSRC2:TGID_Z_EN: 0
; COMPUTE_PGM_RSRC2:TIDIG_COMP_CNT: 0
; COMPUTE_PGM_RSRC3_GFX90A:ACCUM_OFFSET: 8
; COMPUTE_PGM_RSRC3_GFX90A:TG_SPLIT: 0
	.text
	.p2alignl 6, 3212836864
	.fill 256, 4, 3212836864
	.section	.AMDGPU.gpr_maximums,"",@progbits
	.set amdgpu.max_num_vgpr, 0
	.set amdgpu.max_num_agpr, 0
	.set amdgpu.max_num_sgpr, 0
	.set amdgpu.max_num_named_barrier, 0
	.text
	.section	.debug_abbrev,"",@progbits
	.byte	1                               ; Abbreviation Code
	.byte	17                              ; DW_TAG_compile_unit
	.byte	1                               ; DW_CHILDREN_yes
	.byte	37                              ; DW_AT_producer
	.byte	14                              ; DW_FORM_strp
	.byte	19                              ; DW_AT_language
	.byte	5                               ; DW_FORM_data2
	.byte	3                               ; DW_AT_name
	.byte	14                              ; DW_FORM_strp
	.byte	16                              ; DW_AT_stmt_list
	.byte	23                              ; DW_FORM_sec_offset
	.byte	27                              ; DW_AT_comp_dir
	.byte	14                              ; DW_FORM_strp
	.byte	17                              ; DW_AT_low_pc
	.byte	1                               ; DW_FORM_addr
	.byte	18                              ; DW_AT_high_pc
	.byte	6                               ; DW_FORM_data4
	.byte	0                               ; EOM(1)
	.byte	0                               ; EOM(2)
	.byte	2                               ; Abbreviation Code
	.byte	46                              ; DW_TAG_subprogram
	.byte	0                               ; DW_CHILDREN_no
	.byte	3                               ; DW_AT_name
	.byte	14                              ; DW_FORM_strp
	.byte	32                              ; DW_AT_inline
	.byte	11                              ; DW_FORM_data1
	.byte	0                               ; EOM(1)
	.byte	0                               ; EOM(2)
	.byte	3                               ; Abbreviation Code
	.byte	46                              ; DW_TAG_subprogram
	.byte	1                               ; DW_CHILDREN_yes
	.byte	17                              ; DW_AT_low_pc
	.byte	1                               ; DW_FORM_addr
	.byte	18                              ; DW_AT_high_pc
	.byte	6                               ; DW_FORM_data4
	.byte	49                              ; DW_AT_abstract_origin
	.byte	19                              ; DW_FORM_ref4
	.byte	0                               ; EOM(1)
	.byte	0                               ; EOM(2)
	.byte	4                               ; Abbreviation Code
	.byte	29                              ; DW_TAG_inlined_subroutine
	.byte	1                               ; DW_CHILDREN_yes
	.byte	49                              ; DW_AT_abstract_origin
	.byte	19                              ; DW_FORM_ref4
	.byte	85                              ; DW_AT_ranges
	.byte	23                              ; DW_FORM_sec_offset
	.byte	88                              ; DW_AT_call_file
	.byte	11                              ; DW_FORM_data1
	.byte	89                              ; DW_AT_call_line
	.byte	11                              ; DW_FORM_data1
	.byte	87                              ; DW_AT_call_column
	.byte	11                              ; DW_FORM_data1
	.byte	0                               ; EOM(1)
	.byte	0                               ; EOM(2)
	.byte	5                               ; Abbreviation Code
	.byte	29                              ; DW_TAG_inlined_subroutine
	.byte	0                               ; DW_CHILDREN_no
	.byte	49                              ; DW_AT_abstract_origin
	.byte	19                              ; DW_FORM_ref4
	.byte	85                              ; DW_AT_ranges
	.byte	23                              ; DW_FORM_sec_offset
	.byte	88                              ; DW_AT_call_file
	.byte	11                              ; DW_FORM_data1
	.byte	89                              ; DW_AT_call_line
	.byte	5                               ; DW_FORM_data2
	.byte	87                              ; DW_AT_call_column
	.byte	11                              ; DW_FORM_data1
	.byte	0                               ; EOM(1)
	.byte	0                               ; EOM(2)
	;; [unrolled: 1-line block ×3, first 2 shown]
	.section	.debug_info,"",@progbits
.Lcu_begin0:
	.long	.Ldebug_info_end0-.Ldebug_info_start0 ; Length of Unit
.Ldebug_info_start0:
	.short	4                               ; DWARF version number
	.long	.debug_abbrev                   ; Offset Into Abbrev. Section
	.byte	8                               ; Address Size (in bytes)
	.byte	1                               ; Abbrev [1] 0xb:0x52 DW_TAG_compile_unit
	.long	.Linfo_string0                  ; DW_AT_producer
	.short	2                               ; DW_AT_language
	.long	.Linfo_string1                  ; DW_AT_name
	.long	.Lline_table_start0             ; DW_AT_stmt_list
	.long	.Linfo_string2                  ; DW_AT_comp_dir
	.quad	.Lfunc_begin0                   ; DW_AT_low_pc
	.long	.Lfunc_end0-.Lfunc_begin0       ; DW_AT_high_pc
	.byte	2                               ; Abbrev [2] 0x2a:0x6 DW_TAG_subprogram
	.long	.Linfo_string3                  ; DW_AT_name
	.byte	1                               ; DW_AT_inline
	.byte	3                               ; Abbrev [3] 0x30:0x2c DW_TAG_subprogram
	.quad	.Lfunc_begin0                   ; DW_AT_low_pc
	.long	.Lfunc_end0-.Lfunc_begin0       ; DW_AT_high_pc
	.long	42                              ; DW_AT_abstract_origin
	.byte	4                               ; Abbrev [4] 0x41:0x1a DW_TAG_inlined_subroutine
	.long	42                              ; DW_AT_abstract_origin
	.long	.Ldebug_ranges0                 ; DW_AT_ranges
	.byte	1                               ; DW_AT_call_file
	.byte	40                              ; DW_AT_call_line
	.byte	17                              ; DW_AT_call_column
	.byte	5                               ; Abbrev [5] 0x4d:0xd DW_TAG_inlined_subroutine
	.long	42                              ; DW_AT_abstract_origin
	.long	.Ldebug_ranges1                 ; DW_AT_ranges
	.byte	2                               ; DW_AT_call_file
	.short	293                             ; DW_AT_call_line
	.byte	36                              ; DW_AT_call_column
	.byte	0                               ; End Of Children Mark
	.byte	0                               ; End Of Children Mark
	;; [unrolled: 1-line block ×3, first 2 shown]
.Ldebug_info_end0:
	.section	.debug_ranges,"",@progbits
.Ldebug_ranges0:
	.quad	.Ltmp2-.Lfunc_begin0
	.quad	.Ltmp3-.Lfunc_begin0
	;; [unrolled: 1-line block ×14, first 2 shown]
	.quad	0
	.quad	0
.Ldebug_ranges1:
	.quad	.Ltmp4-.Lfunc_begin0
	.quad	.Ltmp5-.Lfunc_begin0
	;; [unrolled: 1-line block ×14, first 2 shown]
	.quad	0
	.quad	0
	.section	.debug_str,"MS",@progbits,1
.Linfo_string0:
	.asciz	"triton"                        ; string offset=0
.Linfo_string1:
	.asciz	"fused_add_rms_norm_aot.py"     ; string offset=7
.Linfo_string2:
	.asciz	"/root/src/amdgpu-assembly/repos/FlagOpen__FlagGems/triton_aot_kernels" ; string offset=33
.Linfo_string3:
	.asciz	"fused_add_rms_norm_kernel"     ; string offset=103
	.section	".note.GNU-stack","",@progbits
	.amdgpu_metadata
---
amdhsa.kernels:
  - .agpr_count:     0
    .args:
      - .address_space:  global
        .offset:         0
        .size:           8
        .value_kind:     global_buffer
      - .address_space:  global
        .offset:         8
        .size:           8
        .value_kind:     global_buffer
      - .address_space:  global
        .offset:         16
        .size:           8
        .value_kind:     global_buffer
      - .offset:         24
        .size:           4
        .value_kind:     by_value
      - .offset:         28
        .size:           4
        .value_kind:     by_value
      - .offset:         32
        .size:           4
        .value_kind:     by_value
      - .offset:         36
        .size:           4
        .value_kind:     by_value
      - .offset:         40
        .size:           4
        .value_kind:     by_value
      - .offset:         44
        .size:           4
        .value_kind:     by_value
      - .address_space:  global
        .offset:         48
        .size:           8
        .value_kind:     global_buffer
      - .address_space:  global
        .offset:         56
        .size:           8
        .value_kind:     global_buffer
    .group_segment_fixed_size: 0
    .kernarg_segment_align: 8
    .kernarg_segment_size: 64
    .max_flat_workgroup_size: 512
    .name:           fused_add_rms_norm_kernel
    .private_segment_fixed_size: 0
    .sgpr_count:     30
    .sgpr_spill_count: 0
    .symbol:         fused_add_rms_norm_kernel.kd
    .uniform_work_group_size: 1
    .uses_dynamic_stack: false
    .vgpr_count:     34
    .vgpr_spill_count: 0
    .wavefront_size: 64
amdhsa.target:   amdgcn-amd-amdhsa--gfx950
amdhsa.version:
  - 1
  - 2
...

	.end_amdgpu_metadata
	.section	.debug_line,"",@progbits
.Lline_table_start0:
